;; amdgpu-corpus repo=ROCm/rocFFT kind=compiled arch=gfx1201 opt=O3
	.text
	.amdgcn_target "amdgcn-amd-amdhsa--gfx1201"
	.amdhsa_code_object_version 6
	.protected	fft_rtc_back_len242_factors_11_2_11_wgs_110_tpt_22_half_ip_CI_unitstride_sbrr_R2C_dirReg ; -- Begin function fft_rtc_back_len242_factors_11_2_11_wgs_110_tpt_22_half_ip_CI_unitstride_sbrr_R2C_dirReg
	.globl	fft_rtc_back_len242_factors_11_2_11_wgs_110_tpt_22_half_ip_CI_unitstride_sbrr_R2C_dirReg
	.p2align	8
	.type	fft_rtc_back_len242_factors_11_2_11_wgs_110_tpt_22_half_ip_CI_unitstride_sbrr_R2C_dirReg,@function
fft_rtc_back_len242_factors_11_2_11_wgs_110_tpt_22_half_ip_CI_unitstride_sbrr_R2C_dirReg: ; @fft_rtc_back_len242_factors_11_2_11_wgs_110_tpt_22_half_ip_CI_unitstride_sbrr_R2C_dirReg
; %bb.0:
	s_load_b128 s[4:7], s[0:1], 0x0
	v_mul_u32_u24_e32 v1, 0xba3, v0
	s_clause 0x1
	s_load_b64 s[8:9], s[0:1], 0x50
	s_load_b64 s[10:11], s[0:1], 0x18
	v_mov_b32_e32 v5, 0
	v_lshrrev_b32_e32 v1, 16, v1
	s_delay_alu instid0(VALU_DEP_1) | instskip(SKIP_3) | instid1(VALU_DEP_1)
	v_mad_co_u64_u32 v[1:2], null, ttmp9, 5, v[1:2]
	v_mov_b32_e32 v3, 0
	v_mov_b32_e32 v4, 0
	;; [unrolled: 1-line block ×4, first 2 shown]
	s_wait_kmcnt 0x0
	v_cmp_lt_u64_e64 s2, s[6:7], 2
	v_mov_b32_e32 v9, v1
	s_delay_alu instid0(VALU_DEP_2)
	s_and_b32 vcc_lo, exec_lo, s2
	s_cbranch_vccnz .LBB0_8
; %bb.1:
	s_load_b64 s[2:3], s[0:1], 0x10
	v_dual_mov_b32 v3, 0 :: v_dual_mov_b32 v8, v2
	v_dual_mov_b32 v4, 0 :: v_dual_mov_b32 v7, v1
	s_add_nc_u64 s[12:13], s[10:11], 8
	s_mov_b64 s[14:15], 1
	s_wait_kmcnt 0x0
	s_add_nc_u64 s[16:17], s[2:3], 8
	s_mov_b32 s3, 0
.LBB0_2:                                ; =>This Inner Loop Header: Depth=1
	s_load_b64 s[18:19], s[16:17], 0x0
                                        ; implicit-def: $vgpr9_vgpr10
	s_mov_b32 s2, exec_lo
	s_wait_kmcnt 0x0
	v_or_b32_e32 v6, s19, v8
	s_delay_alu instid0(VALU_DEP_1)
	v_cmpx_ne_u64_e32 0, v[5:6]
	s_wait_alu 0xfffe
	s_xor_b32 s20, exec_lo, s2
	s_cbranch_execz .LBB0_4
; %bb.3:                                ;   in Loop: Header=BB0_2 Depth=1
	s_cvt_f32_u32 s2, s18
	s_cvt_f32_u32 s21, s19
	s_sub_nc_u64 s[24:25], 0, s[18:19]
	s_wait_alu 0xfffe
	s_delay_alu instid0(SALU_CYCLE_1) | instskip(SKIP_1) | instid1(SALU_CYCLE_2)
	s_fmamk_f32 s2, s21, 0x4f800000, s2
	s_wait_alu 0xfffe
	v_s_rcp_f32 s2, s2
	s_delay_alu instid0(TRANS32_DEP_1) | instskip(SKIP_1) | instid1(SALU_CYCLE_2)
	s_mul_f32 s2, s2, 0x5f7ffffc
	s_wait_alu 0xfffe
	s_mul_f32 s21, s2, 0x2f800000
	s_wait_alu 0xfffe
	s_delay_alu instid0(SALU_CYCLE_2) | instskip(SKIP_1) | instid1(SALU_CYCLE_2)
	s_trunc_f32 s21, s21
	s_wait_alu 0xfffe
	s_fmamk_f32 s2, s21, 0xcf800000, s2
	s_cvt_u32_f32 s23, s21
	s_wait_alu 0xfffe
	s_delay_alu instid0(SALU_CYCLE_1) | instskip(SKIP_1) | instid1(SALU_CYCLE_2)
	s_cvt_u32_f32 s22, s2
	s_wait_alu 0xfffe
	s_mul_u64 s[26:27], s[24:25], s[22:23]
	s_wait_alu 0xfffe
	s_mul_hi_u32 s29, s22, s27
	s_mul_i32 s28, s22, s27
	s_mul_hi_u32 s2, s22, s26
	s_mul_i32 s30, s23, s26
	s_wait_alu 0xfffe
	s_add_nc_u64 s[28:29], s[2:3], s[28:29]
	s_mul_hi_u32 s21, s23, s26
	s_mul_hi_u32 s31, s23, s27
	s_add_co_u32 s2, s28, s30
	s_wait_alu 0xfffe
	s_add_co_ci_u32 s2, s29, s21
	s_mul_i32 s26, s23, s27
	s_add_co_ci_u32 s27, s31, 0
	s_wait_alu 0xfffe
	s_add_nc_u64 s[26:27], s[2:3], s[26:27]
	s_wait_alu 0xfffe
	v_add_co_u32 v2, s2, s22, s26
	s_delay_alu instid0(VALU_DEP_1) | instskip(SKIP_1) | instid1(VALU_DEP_1)
	s_cmp_lg_u32 s2, 0
	s_add_co_ci_u32 s23, s23, s27
	v_readfirstlane_b32 s22, v2
	s_wait_alu 0xfffe
	s_delay_alu instid0(VALU_DEP_1)
	s_mul_u64 s[24:25], s[24:25], s[22:23]
	s_wait_alu 0xfffe
	s_mul_hi_u32 s27, s22, s25
	s_mul_i32 s26, s22, s25
	s_mul_hi_u32 s2, s22, s24
	s_mul_i32 s28, s23, s24
	s_wait_alu 0xfffe
	s_add_nc_u64 s[26:27], s[2:3], s[26:27]
	s_mul_hi_u32 s21, s23, s24
	s_mul_hi_u32 s22, s23, s25
	s_wait_alu 0xfffe
	s_add_co_u32 s2, s26, s28
	s_add_co_ci_u32 s2, s27, s21
	s_mul_i32 s24, s23, s25
	s_add_co_ci_u32 s25, s22, 0
	s_wait_alu 0xfffe
	s_add_nc_u64 s[24:25], s[2:3], s[24:25]
	s_wait_alu 0xfffe
	v_add_co_u32 v2, s2, v2, s24
	s_delay_alu instid0(VALU_DEP_1) | instskip(SKIP_1) | instid1(VALU_DEP_1)
	s_cmp_lg_u32 s2, 0
	s_add_co_ci_u32 s2, s23, s25
	v_mul_hi_u32 v6, v7, v2
	s_wait_alu 0xfffe
	v_mad_co_u64_u32 v[9:10], null, v7, s2, 0
	v_mad_co_u64_u32 v[11:12], null, v8, v2, 0
	;; [unrolled: 1-line block ×3, first 2 shown]
	s_delay_alu instid0(VALU_DEP_3) | instskip(SKIP_1) | instid1(VALU_DEP_4)
	v_add_co_u32 v2, vcc_lo, v6, v9
	s_wait_alu 0xfffd
	v_add_co_ci_u32_e32 v6, vcc_lo, 0, v10, vcc_lo
	s_delay_alu instid0(VALU_DEP_2) | instskip(SKIP_1) | instid1(VALU_DEP_2)
	v_add_co_u32 v2, vcc_lo, v2, v11
	s_wait_alu 0xfffd
	v_add_co_ci_u32_e32 v2, vcc_lo, v6, v12, vcc_lo
	s_wait_alu 0xfffd
	v_add_co_ci_u32_e32 v6, vcc_lo, 0, v14, vcc_lo
	s_delay_alu instid0(VALU_DEP_2) | instskip(SKIP_1) | instid1(VALU_DEP_2)
	v_add_co_u32 v2, vcc_lo, v2, v13
	s_wait_alu 0xfffd
	v_add_co_ci_u32_e32 v6, vcc_lo, 0, v6, vcc_lo
	s_delay_alu instid0(VALU_DEP_2) | instskip(SKIP_1) | instid1(VALU_DEP_3)
	v_mul_lo_u32 v11, s19, v2
	v_mad_co_u64_u32 v[9:10], null, s18, v2, 0
	v_mul_lo_u32 v12, s18, v6
	s_delay_alu instid0(VALU_DEP_2) | instskip(NEXT) | instid1(VALU_DEP_2)
	v_sub_co_u32 v9, vcc_lo, v7, v9
	v_add3_u32 v10, v10, v12, v11
	s_delay_alu instid0(VALU_DEP_1) | instskip(SKIP_1) | instid1(VALU_DEP_1)
	v_sub_nc_u32_e32 v11, v8, v10
	s_wait_alu 0xfffd
	v_subrev_co_ci_u32_e64 v11, s2, s19, v11, vcc_lo
	v_add_co_u32 v12, s2, v2, 2
	s_wait_alu 0xf1ff
	v_add_co_ci_u32_e64 v13, s2, 0, v6, s2
	v_sub_co_u32 v14, s2, v9, s18
	v_sub_co_ci_u32_e32 v10, vcc_lo, v8, v10, vcc_lo
	s_wait_alu 0xf1ff
	v_subrev_co_ci_u32_e64 v11, s2, 0, v11, s2
	s_delay_alu instid0(VALU_DEP_3) | instskip(NEXT) | instid1(VALU_DEP_3)
	v_cmp_le_u32_e32 vcc_lo, s18, v14
	v_cmp_eq_u32_e64 s2, s19, v10
	s_wait_alu 0xfffd
	v_cndmask_b32_e64 v14, 0, -1, vcc_lo
	v_cmp_le_u32_e32 vcc_lo, s19, v11
	s_wait_alu 0xfffd
	v_cndmask_b32_e64 v15, 0, -1, vcc_lo
	v_cmp_le_u32_e32 vcc_lo, s18, v9
	;; [unrolled: 3-line block ×3, first 2 shown]
	s_wait_alu 0xfffd
	v_cndmask_b32_e64 v16, 0, -1, vcc_lo
	v_cmp_eq_u32_e32 vcc_lo, s19, v11
	s_wait_alu 0xf1ff
	s_delay_alu instid0(VALU_DEP_2)
	v_cndmask_b32_e64 v9, v16, v9, s2
	s_wait_alu 0xfffd
	v_cndmask_b32_e32 v11, v15, v14, vcc_lo
	v_add_co_u32 v14, vcc_lo, v2, 1
	s_wait_alu 0xfffd
	v_add_co_ci_u32_e32 v15, vcc_lo, 0, v6, vcc_lo
	s_delay_alu instid0(VALU_DEP_3) | instskip(SKIP_1) | instid1(VALU_DEP_2)
	v_cmp_ne_u32_e32 vcc_lo, 0, v11
	s_wait_alu 0xfffd
	v_dual_cndmask_b32 v10, v15, v13 :: v_dual_cndmask_b32 v11, v14, v12
	v_cmp_ne_u32_e32 vcc_lo, 0, v9
	s_wait_alu 0xfffd
	s_delay_alu instid0(VALU_DEP_2) | instskip(NEXT) | instid1(VALU_DEP_3)
	v_cndmask_b32_e32 v10, v6, v10, vcc_lo
	v_cndmask_b32_e32 v9, v2, v11, vcc_lo
.LBB0_4:                                ;   in Loop: Header=BB0_2 Depth=1
	s_wait_alu 0xfffe
	s_and_not1_saveexec_b32 s2, s20
	s_cbranch_execz .LBB0_6
; %bb.5:                                ;   in Loop: Header=BB0_2 Depth=1
	v_cvt_f32_u32_e32 v2, s18
	s_sub_co_i32 s20, 0, s18
	s_delay_alu instid0(VALU_DEP_1) | instskip(NEXT) | instid1(TRANS32_DEP_1)
	v_rcp_iflag_f32_e32 v2, v2
	v_mul_f32_e32 v2, 0x4f7ffffe, v2
	s_delay_alu instid0(VALU_DEP_1) | instskip(SKIP_1) | instid1(VALU_DEP_1)
	v_cvt_u32_f32_e32 v2, v2
	s_wait_alu 0xfffe
	v_mul_lo_u32 v6, s20, v2
	s_delay_alu instid0(VALU_DEP_1) | instskip(NEXT) | instid1(VALU_DEP_1)
	v_mul_hi_u32 v6, v2, v6
	v_add_nc_u32_e32 v2, v2, v6
	s_delay_alu instid0(VALU_DEP_1) | instskip(NEXT) | instid1(VALU_DEP_1)
	v_mul_hi_u32 v2, v7, v2
	v_mul_lo_u32 v6, v2, s18
	v_add_nc_u32_e32 v9, 1, v2
	s_delay_alu instid0(VALU_DEP_2) | instskip(NEXT) | instid1(VALU_DEP_1)
	v_sub_nc_u32_e32 v6, v7, v6
	v_subrev_nc_u32_e32 v10, s18, v6
	v_cmp_le_u32_e32 vcc_lo, s18, v6
	s_wait_alu 0xfffd
	s_delay_alu instid0(VALU_DEP_2) | instskip(SKIP_2) | instid1(VALU_DEP_3)
	v_cndmask_b32_e32 v6, v6, v10, vcc_lo
	v_mov_b32_e32 v10, v5
	v_cndmask_b32_e32 v2, v2, v9, vcc_lo
	v_cmp_le_u32_e32 vcc_lo, s18, v6
	s_delay_alu instid0(VALU_DEP_2) | instskip(SKIP_1) | instid1(VALU_DEP_1)
	v_add_nc_u32_e32 v9, 1, v2
	s_wait_alu 0xfffd
	v_cndmask_b32_e32 v9, v2, v9, vcc_lo
.LBB0_6:                                ;   in Loop: Header=BB0_2 Depth=1
	s_wait_alu 0xfffe
	s_or_b32 exec_lo, exec_lo, s2
	s_load_b64 s[20:21], s[12:13], 0x0
	v_mul_lo_u32 v2, v10, s18
	v_mul_lo_u32 v6, v9, s19
	v_mad_co_u64_u32 v[11:12], null, v9, s18, 0
	s_add_nc_u64 s[14:15], s[14:15], 1
	s_add_nc_u64 s[12:13], s[12:13], 8
	s_wait_alu 0xfffe
	v_cmp_ge_u64_e64 s2, s[14:15], s[6:7]
	s_add_nc_u64 s[16:17], s[16:17], 8
	s_delay_alu instid0(VALU_DEP_2) | instskip(NEXT) | instid1(VALU_DEP_3)
	v_add3_u32 v2, v12, v6, v2
	v_sub_co_u32 v6, vcc_lo, v7, v11
	s_wait_alu 0xfffd
	s_delay_alu instid0(VALU_DEP_2) | instskip(SKIP_3) | instid1(VALU_DEP_2)
	v_sub_co_ci_u32_e32 v2, vcc_lo, v8, v2, vcc_lo
	s_and_b32 vcc_lo, exec_lo, s2
	s_wait_kmcnt 0x0
	v_mul_lo_u32 v7, s21, v6
	v_mul_lo_u32 v2, s20, v2
	v_mad_co_u64_u32 v[3:4], null, s20, v6, v[3:4]
	s_delay_alu instid0(VALU_DEP_1)
	v_add3_u32 v4, v7, v4, v2
	s_wait_alu 0xfffe
	s_cbranch_vccnz .LBB0_8
; %bb.7:                                ;   in Loop: Header=BB0_2 Depth=1
	v_dual_mov_b32 v7, v9 :: v_dual_mov_b32 v8, v10
	s_branch .LBB0_2
.LBB0_8:
	s_lshl_b64 s[2:3], s[6:7], 3
	v_mul_hi_u32 v2, 0xcccccccd, v1
	s_wait_alu 0xfffe
	s_add_nc_u64 s[2:3], s[10:11], s[2:3]
	v_mul_hi_u32 v5, 0xba2e8bb, v0
	s_load_b64 s[2:3], s[2:3], 0x0
	s_load_b64 s[0:1], s[0:1], 0x20
	s_delay_alu instid0(VALU_DEP_2) | instskip(NEXT) | instid1(VALU_DEP_2)
	v_lshrrev_b32_e32 v2, 2, v2
	v_mul_u32_u24_e32 v5, 22, v5
	s_delay_alu instid0(VALU_DEP_2) | instskip(NEXT) | instid1(VALU_DEP_2)
	v_lshl_add_u32 v6, v2, 2, v2
	v_sub_nc_u32_e32 v8, v0, v5
	s_delay_alu instid0(VALU_DEP_2) | instskip(NEXT) | instid1(VALU_DEP_2)
	v_sub_nc_u32_e32 v0, v1, v6
	v_add_nc_u32_e32 v12, 22, v8
	v_add_nc_u32_e32 v17, 44, v8
	;; [unrolled: 1-line block ×3, first 2 shown]
	s_wait_kmcnt 0x0
	v_mul_lo_u32 v5, s2, v10
	v_mul_lo_u32 v7, s3, v9
	v_mad_co_u64_u32 v[2:3], null, s2, v9, v[3:4]
	v_cmp_gt_u64_e32 vcc_lo, s[0:1], v[9:10]
	v_cmp_le_u64_e64 s0, s[0:1], v[9:10]
	v_add_nc_u32_e32 v15, 0x58, v8
	v_add_nc_u32_e32 v14, 0x6e, v8
	v_add3_u32 v3, v7, v3, v5
	s_delay_alu instid0(VALU_DEP_4)
	s_and_saveexec_b32 s1, s0
	s_wait_alu 0xfffe
	s_xor_b32 s0, exec_lo, s1
; %bb.9:
	v_add_nc_u32_e32 v12, 22, v8
	v_add_nc_u32_e32 v17, 44, v8
	v_add_nc_u32_e32 v16, 0x42, v8
	v_add_nc_u32_e32 v15, 0x58, v8
	v_add_nc_u32_e32 v14, 0x6e, v8
; %bb.10:
	s_wait_alu 0xfffe
	s_or_saveexec_b32 s1, s0
	v_mul_u32_u24_e32 v0, 0xf3, v0
	v_lshlrev_b64_e32 v[10:11], 2, v[2:3]
	v_lshlrev_b32_e32 v13, 2, v8
	s_delay_alu instid0(VALU_DEP_3)
	v_lshlrev_b32_e32 v31, 2, v0
	s_wait_alu 0xfffe
	s_xor_b32 exec_lo, exec_lo, s1
	s_cbranch_execz .LBB0_12
; %bb.11:
	v_mov_b32_e32 v9, 0
	v_add_co_u32 v2, s0, s8, v10
	s_wait_alu 0xf1ff
	v_add_co_ci_u32_e64 v3, s0, s9, v11, s0
	s_delay_alu instid0(VALU_DEP_3) | instskip(NEXT) | instid1(VALU_DEP_1)
	v_lshlrev_b64_e32 v[0:1], 2, v[8:9]
	v_add_co_u32 v0, s0, v2, v0
	s_wait_alu 0xf1ff
	s_delay_alu instid0(VALU_DEP_2)
	v_add_co_ci_u32_e64 v1, s0, v3, v1, s0
	s_clause 0xa
	global_load_b32 v2, v[0:1], off
	global_load_b32 v3, v[0:1], off offset:88
	global_load_b32 v4, v[0:1], off offset:176
	;; [unrolled: 1-line block ×10, first 2 shown]
	v_add3_u32 v1, 0, v31, v13
	s_wait_loadcnt 0x9
	ds_store_2addr_b32 v1, v2, v3 offset1:22
	s_wait_loadcnt 0x7
	ds_store_2addr_b32 v1, v4, v5 offset0:44 offset1:66
	s_wait_loadcnt 0x5
	ds_store_2addr_b32 v1, v6, v7 offset0:88 offset1:110
	;; [unrolled: 2-line block ×4, first 2 shown]
	s_wait_loadcnt 0x0
	ds_store_b32 v1, v0 offset:880
.LBB0_12:
	s_or_b32 exec_lo, exec_lo, s1
	v_add_nc_u32_e32 v25, 0, v31
	v_add3_u32 v9, 0, v13, v31
	global_wb scope:SCOPE_SE
	s_wait_dscnt 0x0
	s_barrier_signal -1
	s_barrier_wait -1
	v_add_nc_u32_e32 v24, v25, v13
	global_inv scope:SCOPE_SE
	v_mad_u32_u24 v21, v8, 40, v9
	ds_load_2addr_b32 v[0:1], v9 offset0:22 offset1:44
	ds_load_2addr_b32 v[2:3], v9 offset0:198 offset1:220
	ds_load_b32 v20, v24
	ds_load_2addr_b32 v[4:5], v9 offset0:66 offset1:88
	ds_load_2addr_b32 v[6:7], v9 offset0:110 offset1:132
	;; [unrolled: 1-line block ×3, first 2 shown]
	global_wb scope:SCOPE_SE
	s_wait_dscnt 0x0
	s_barrier_signal -1
	s_barrier_wait -1
	global_inv scope:SCOPE_SE
	v_pk_add_f16 v22, v0, v3 neg_lo:[0,1] neg_hi:[0,1]
	v_pk_add_f16 v23, v3, v0
	v_pk_add_f16 v0, v20, v0
	v_pk_add_f16 v27, v1, v2 neg_lo:[0,1] neg_hi:[0,1]
	v_pk_add_f16 v26, v2, v1
	v_pk_mul_f16 v28, 0xb853, v22 op_sel_hi:[0,1]
	v_lshrrev_b32_e32 v29, 16, v22
	v_pk_add_f16 v0, v0, v1
	v_lshrrev_b32_e32 v30, 16, v23
	v_pk_mul_f16 v33, 0xbb47, v27 op_sel_hi:[0,1]
	v_lshrrev_b32_e32 v34, 16, v27
	v_pk_fma_f16 v1, 0x3abb, v23, v28 op_sel:[0,0,1] op_sel_hi:[0,1,0]
	v_pk_add_f16 v0, v0, v4
	v_pk_fma_f16 v28, 0x3abb, v23, v28 op_sel:[0,0,1] op_sel_hi:[0,1,0] neg_lo:[0,0,1] neg_hi:[0,0,1]
	v_mul_f16_e32 v36, 0xbb47, v29
	v_lshrrev_b32_e32 v35, 16, v26
	v_mul_f16_e32 v37, 0x36a6, v30
	v_pk_add_f16 v0, v0, v5
	v_mul_f16_e32 v38, 0xbbeb, v29
	v_mul_f16_e32 v39, 0xb08e, v30
	;; [unrolled: 1-line block ×4, first 2 shown]
	v_pk_add_f16 v0, v0, v6
	v_pk_fma_f16 v40, 0x36a6, v26, v33 op_sel:[0,0,1] op_sel_hi:[0,1,0]
	v_pk_fma_f16 v33, 0x36a6, v26, v33 op_sel:[0,0,1] op_sel_hi:[0,1,0] neg_lo:[0,0,1] neg_hi:[0,0,1]
	v_mul_f16_e32 v41, 0xba0c, v34
	v_bfi_b32 v42, 0xffff, v1, v28
	v_pk_add_f16 v0, v0, v7
	v_fmamk_f16 v43, v23, 0x36a6, v36
	v_lshrrev_b32_e32 v32, 16, v20
	v_fmamk_f16 v44, v22, 0x3b47, v37
	v_fmac_f16_e32 v37, 0xbb47, v22
	v_pk_add_f16 v0, v0, v18
	v_fmamk_f16 v45, v23, 0xb08e, v38
	v_fmamk_f16 v46, v22, 0x3beb, v39
	v_fma_f16 v38, v23, 0xb08e, -v38
	v_fmac_f16_e32 v39, 0xbbeb, v22
	v_pk_add_f16 v0, v0, v19
	v_fmamk_f16 v47, v23, 0xb93d, v29
	v_fmamk_f16 v48, v22, 0x3a0c, v30
	v_fmac_f16_e32 v30, 0xba0c, v22
	v_bfi_b32 v49, 0xffff, v40, v33
	v_pk_add_f16 v0, v0, v2
	v_fmamk_f16 v50, v26, 0xb93d, v41
	v_pk_add_f16 v42, v20, v42
	v_add_f16_e32 v43, v20, v43
	v_add_f16_e32 v44, v32, v44
	v_pk_add_f16 v0, v0, v3
	v_mul_f16_e32 v3, 0xb93d, v35
	v_add_f16_e32 v37, v32, v37
	v_add_f16_e32 v46, v32, v46
	;; [unrolled: 1-line block ×7, first 2 shown]
	v_pk_add_f16 v32, v49, v42
	v_add_f16_e32 v42, v50, v43
	v_fmamk_f16 v43, v27, 0x3a0c, v3
	v_mul_f16_e32 v48, 0x3482, v34
	v_fmac_f16_e32 v3, 0xba0c, v27
	v_fma_f16 v36, v23, 0x36a6, -v36
	v_mul_f16_e32 v49, 0xbbad, v35
	v_add_f16_e32 v45, v20, v45
	v_fma_f16 v41, v26, 0xb93d, -v41
	v_add_f16_e32 v3, v3, v37
	v_fma_f16 v37, v26, 0xbbad, -v48
	v_add_f16_e32 v36, v20, v36
	v_add_f16_e32 v43, v43, v44
	v_fmamk_f16 v44, v26, 0xbbad, v48
	v_fmamk_f16 v50, v27, 0xb482, v49
	v_mul_f16_e32 v34, 0x3beb, v34
	v_mul_f16_e32 v35, 0xb08e, v35
	v_add_f16_e32 v2, v37, v2
	v_pk_add_f16 v37, v4, v19 neg_lo:[0,1] neg_hi:[0,1]
	v_add_f16_e32 v36, v41, v36
	v_add_f16_e32 v41, v44, v45
	;; [unrolled: 1-line block ×3, first 2 shown]
	v_fmac_f16_e32 v49, 0x3482, v27
	v_fmamk_f16 v45, v26, 0xb08e, v34
	v_fmamk_f16 v46, v27, 0xbbeb, v35
	v_pk_add_f16 v4, v19, v4
	v_pk_mul_f16 v19, 0xbbeb, v37 op_sel_hi:[0,1]
	v_lshrrev_b32_e32 v48, 16, v37
	v_fma_f16 v29, v23, 0xb93d, -v29
	v_add_f16_e32 v38, v49, v38
	v_add_f16_e32 v39, v45, v39
	;; [unrolled: 1-line block ×3, first 2 shown]
	v_pk_fma_f16 v46, 0xb08e, v4, v19 op_sel:[0,0,1] op_sel_hi:[0,1,0]
	v_pk_fma_f16 v19, 0xb08e, v4, v19 op_sel:[0,0,1] op_sel_hi:[0,1,0] neg_lo:[0,0,1] neg_hi:[0,0,1]
	v_mul_f16_e32 v47, 0x3482, v48
	v_lshrrev_b32_e32 v49, 16, v4
	v_add_f16_e32 v29, v20, v29
	v_fma_f16 v34, v26, 0xb08e, -v34
	v_fmac_f16_e32 v35, 0x3beb, v27
	v_bfi_b32 v50, 0xffff, v46, v19
	v_fmamk_f16 v51, v4, 0xbbad, v47
	v_mul_f16_e32 v52, 0xbbad, v49
	v_add_f16_e32 v29, v34, v29
	v_add_f16_e32 v30, v35, v30
	v_pk_add_f16 v32, v50, v32
	v_add_f16_e32 v34, v51, v42
	v_fmamk_f16 v35, v37, 0xb482, v52
	v_mul_f16_e32 v42, 0x3b47, v48
	v_mul_f16_e32 v50, 0x36a6, v49
	v_fma_f16 v47, v4, 0xbbad, -v47
	v_fmac_f16_e32 v52, 0x3482, v37
	v_add_f16_e32 v35, v35, v43
	v_fmamk_f16 v43, v4, 0x36a6, v42
	v_fmamk_f16 v51, v37, 0xbb47, v50
	v_fma_f16 v42, v4, 0x36a6, -v42
	v_add_f16_e32 v36, v47, v36
	v_mul_f16_e32 v47, 0x3abb, v49
	v_add_f16_e32 v41, v43, v41
	v_add_f16_e32 v43, v51, v44
	v_mul_f16_e32 v44, 0xb853, v48
	v_add_f16_e32 v2, v42, v2
	v_pk_add_f16 v42, v5, v18 neg_lo:[0,1] neg_hi:[0,1]
	v_pk_add_f16 v5, v18, v5
	v_fmac_f16_e32 v50, 0x3b47, v37
	v_fmamk_f16 v48, v4, 0x3abb, v44
	v_fmamk_f16 v49, v37, 0x3853, v47
	v_pk_mul_f16 v18, 0xba0c, v42 op_sel_hi:[0,1]
	v_lshrrev_b32_e32 v51, 16, v5
	v_add_f16_e32 v38, v50, v38
	v_lshrrev_b32_e32 v50, 16, v42
	v_add_f16_e32 v39, v48, v39
	v_pk_fma_f16 v48, 0xb93d, v5, v18 op_sel:[0,0,1] op_sel_hi:[0,1,0]
	v_pk_fma_f16 v18, 0xb93d, v5, v18 op_sel:[0,0,1] op_sel_hi:[0,1,0] neg_lo:[0,0,1] neg_hi:[0,0,1]
	v_fma_f16 v44, v4, 0x3abb, -v44
	v_fmac_f16_e32 v47, 0xb853, v37
	v_mul_f16_e32 v54, 0xb08e, v51
	v_add_f16_e32 v3, v52, v3
	v_add_f16_e32 v45, v49, v45
	v_mul_f16_e32 v49, 0x3beb, v50
	v_bfi_b32 v52, 0xffff, v48, v18
	v_add_f16_e32 v29, v44, v29
	v_add_f16_e32 v30, v47, v30
	v_fmamk_f16 v44, v42, 0xbbeb, v54
	v_mul_f16_e32 v47, 0xb853, v50
	v_fmamk_f16 v53, v5, 0xb08e, v49
	v_pk_add_f16 v32, v52, v32
	v_mul_f16_e32 v52, 0x3abb, v51
	v_fma_f16 v49, v5, 0xb08e, -v49
	v_add_f16_e32 v35, v44, v35
	v_fmamk_f16 v44, v5, 0x3abb, v47
	v_fma_f16 v47, v5, 0x3abb, -v47
	v_add_f16_e32 v34, v53, v34
	v_fmamk_f16 v53, v42, 0x3853, v52
	v_add_f16_e32 v36, v49, v36
	v_add_f16_e32 v41, v44, v41
	v_mul_f16_e32 v44, 0xb482, v50
	v_mul_f16_e32 v49, 0xbbad, v51
	v_add_f16_e32 v2, v47, v2
	v_pk_add_f16 v47, v6, v7 neg_lo:[0,1] neg_hi:[0,1]
	v_fmac_f16_e32 v52, 0xb853, v42
	v_fmamk_f16 v50, v5, 0xbbad, v44
	v_fmamk_f16 v51, v42, 0x3482, v49
	v_pk_add_f16 v6, v7, v6
	v_pk_mul_f16 v7, 0xb482, v47 op_sel_hi:[0,1]
	v_add_f16_e32 v38, v52, v38
	v_lshrrev_b32_e32 v52, 16, v47
	v_fmac_f16_e32 v54, 0x3beb, v42
	v_add_f16_e32 v43, v53, v43
	v_add_f16_e32 v39, v50, v39
	;; [unrolled: 1-line block ×3, first 2 shown]
	v_pk_fma_f16 v50, 0xbbad, v6, v7 op_sel:[0,0,1] op_sel_hi:[0,1,0]
	v_pk_fma_f16 v7, 0xbbad, v6, v7 op_sel:[0,0,1] op_sel_hi:[0,1,0] neg_lo:[0,0,1] neg_hi:[0,0,1]
	v_mul_f16_e32 v51, 0x3853, v52
	v_fma_f16 v44, v5, 0xbbad, -v44
	v_lshrrev_b32_e32 v53, 16, v6
	v_add_f16_e32 v3, v54, v3
	v_fmac_f16_e32 v49, 0xb482, v42
	v_bfi_b32 v54, 0xffff, v50, v7
	v_fmamk_f16 v55, v6, 0x3abb, v51
	v_add_f16_e32 v29, v44, v29
	v_mul_f16_e32 v44, 0x3abb, v53
	v_add_f16_e32 v30, v49, v30
	v_pk_add_f16 v32, v54, v32
	v_add_f16_e32 v34, v55, v34
	v_mul_f16_e32 v49, 0xba0c, v52
	v_fmamk_f16 v54, v47, 0xb853, v44
	v_fma_f16 v51, v6, 0x3abb, -v51
	v_fmac_f16_e32 v44, 0x3853, v47
	v_mul_f16_e32 v55, 0xb93d, v53
	v_fmamk_f16 v56, v6, 0xb93d, v49
	v_fma_f16 v49, v6, 0xb93d, -v49
	v_add_f16_e32 v36, v51, v36
	v_add_f16_e32 v3, v44, v3
	v_fmamk_f16 v44, v47, 0x3a0c, v55
	v_mul_f16_e32 v51, 0x3b47, v52
	v_add_f16_e32 v2, v49, v2
	v_pk_mul_f16 v23, 0xbbad, v23 op_sel_hi:[0,1]
	v_pk_mul_f16 v26, 0x3abb, v26 op_sel_hi:[0,1]
	v_add_f16_e32 v43, v44, v43
	v_mul_f16_e32 v44, 0x36a6, v53
	v_fmamk_f16 v49, v6, 0x36a6, v51
	v_add_f16_e32 v35, v54, v35
	v_add_f16_e32 v41, v56, v41
	v_pk_mul_f16 v4, 0xb93d, v4 op_sel_hi:[0,1]
	v_fmamk_f16 v52, v47, 0xbb47, v44
	v_fmac_f16_e32 v44, 0x3b47, v47
	v_add_f16_e32 v39, v49, v39
	v_pk_fma_f16 v49, 0xb482, v22, v23 op_sel:[0,0,1] op_sel_hi:[0,1,0]
	v_pk_fma_f16 v22, 0xb482, v22, v23 op_sel:[0,0,1] op_sel_hi:[0,1,0] neg_lo:[0,1,0] neg_hi:[0,1,0]
	v_pk_fma_f16 v23, 0x3853, v27, v26 op_sel:[0,0,1] op_sel_hi:[0,1,0]
	v_add_f16_e32 v30, v44, v30
	v_pack_b32_f16 v41, v41, v43
	v_alignbit_b32 v44, s0, v49, 16
	v_pack_b32_f16 v34, v34, v35
	v_alignbit_b32 v43, s0, v20, 16
	v_pk_add_f16 v22, v20, v22 op_sel:[1,0] op_sel_hi:[0,1]
	v_pk_fma_f16 v26, 0x3853, v27, v26 op_sel:[0,0,1] op_sel_hi:[0,1,0] neg_lo:[0,1,0] neg_hi:[0,1,0]
	v_pk_add_f16 v35, v20, v44
	v_alignbit_b32 v44, s0, v23, 16
	v_pk_fma_f16 v27, 0xba0c, v37, v4 op_sel:[0,0,1] op_sel_hi:[0,1,0]
	v_pk_mul_f16 v5, 0x36a6, v5 op_sel_hi:[0,1]
	v_pk_add_f16 v43, v43, v49
	v_pk_add_f16 v22, v26, v22
	;; [unrolled: 1-line block ×3, first 2 shown]
	v_alignbit_b32 v26, s0, v27, 16
	v_pk_fma_f16 v4, 0xba0c, v37, v4 op_sel:[0,0,1] op_sel_hi:[0,1,0] neg_lo:[0,1,0] neg_hi:[0,1,0]
	v_pk_fma_f16 v37, 0x3b47, v42, v5 op_sel:[0,0,1] op_sel_hi:[0,1,0]
	v_bfi_b32 v1, 0xffff, v28, v1
	v_fma_f16 v51, v6, 0x36a6, -v51
	v_pk_add_f16 v23, v23, v43
	v_pk_add_f16 v26, v26, v35
	;; [unrolled: 1-line block ×3, first 2 shown]
	v_alignbit_b32 v22, s0, v37, 16
	v_pk_mul_f16 v6, 0xb08e, v6 op_sel_hi:[0,1]
	v_pk_add_f16 v1, v20, v1
	v_bfi_b32 v20, 0xffff, v33, v40
	v_pk_add_f16 v23, v27, v23
	v_pk_fma_f16 v5, 0x3b47, v42, v5 op_sel:[0,0,1] op_sel_hi:[0,1,0] neg_lo:[0,1,0] neg_hi:[0,1,0]
	v_pk_add_f16 v22, v22, v26
	v_pk_fma_f16 v26, 0xbbeb, v47, v6 op_sel:[0,0,1] op_sel_hi:[0,1,0]
	v_pk_add_f16 v1, v20, v1
	v_bfi_b32 v19, 0xffff, v19, v46
	v_pk_add_f16 v4, v5, v4
	v_pk_fma_f16 v5, 0xbbeb, v47, v6 op_sel:[0,0,1] op_sel_hi:[0,1,0] neg_lo:[0,1,0] neg_hi:[0,1,0]
	v_pk_add_f16 v6, v37, v23
	v_alignbit_b32 v20, s0, v26, 16
	v_fmac_f16_e32 v55, 0xba0c, v47
	v_pk_add_f16 v1, v19, v1
	v_bfi_b32 v18, 0xffff, v18, v48
	v_add_f16_e32 v45, v52, v45
	v_pk_add_f16 v4, v5, v4
	v_pk_add_f16 v5, v26, v6
	;; [unrolled: 1-line block ×3, first 2 shown]
	v_add_f16_e32 v38, v55, v38
	v_add_f16_e32 v29, v51, v29
	v_pk_add_f16 v1, v18, v1
	v_bfi_b32 v7, 0xffff, v7, v50
	v_lshl_add_u32 v28, v17, 2, v25
	v_pack_b32_f16 v19, v39, v45
	v_lshl_add_u32 v27, v16, 2, v25
	v_alignbit_b32 v5, v5, v4, 16
	v_pack_b32_f16 v6, v6, v4
	v_lshl_add_u32 v26, v15, 2, v25
	v_pack_b32_f16 v2, v2, v38
	v_pack_b32_f16 v18, v29, v30
	v_pk_add_f16 v4, v7, v1
	v_pack_b32_f16 v1, v36, v3
	v_lshl_add_u32 v29, v12, 2, v25
	ds_store_2addr_b32 v21, v0, v32 offset1:1
	ds_store_2addr_b32 v21, v34, v41 offset0:2 offset1:3
	ds_store_b32 v21, v19 offset:16
	ds_store_2addr_b32 v21, v6, v5 offset0:5 offset1:6
	ds_store_2addr_b32 v21, v18, v2 offset0:7 offset1:8
	;; [unrolled: 1-line block ×3, first 2 shown]
	global_wb scope:SCOPE_SE
	s_wait_dscnt 0x0
	s_barrier_signal -1
	s_barrier_wait -1
	global_inv scope:SCOPE_SE
	ds_load_b32 v18, v24
	ds_load_2addr_b32 v[0:1], v9 offset0:121 offset1:143
	ds_load_2addr_b32 v[2:3], v9 offset0:165 offset1:187
	ds_load_b32 v19, v28
	ds_load_b32 v20, v27
	;; [unrolled: 1-line block ×4, first 2 shown]
	ds_load_b32 v23, v9 offset:836
	v_lshrrev_b32_e32 v5, 16, v4
	v_cmp_gt_u32_e64 s0, 11, v8
	v_lshlrev_b32_e32 v32, 2, v14
                                        ; implicit-def: $vgpr7
                                        ; implicit-def: $vgpr6
	s_delay_alu instid0(VALU_DEP_2)
	s_and_saveexec_b32 s1, s0
	s_cbranch_execz .LBB0_14
; %bb.13:
	s_delay_alu instid0(VALU_DEP_1)
	v_add3_u32 v4, 0, v32, v31
	ds_load_b32 v4, v4
	ds_load_b32 v6, v9 offset:924
	s_wait_dscnt 0x1
	v_lshrrev_b32_e32 v5, 16, v4
	s_wait_dscnt 0x0
	v_lshrrev_b32_e32 v7, 16, v6
.LBB0_14:
	s_wait_alu 0xfffe
	s_or_b32 exec_lo, exec_lo, s1
	v_and_b32_e32 v35, 0xff, v15
	v_and_b32_e32 v30, 0xff, v12
	;; [unrolled: 1-line block ×4, first 2 shown]
	s_delay_alu instid0(VALU_DEP_4) | instskip(NEXT) | instid1(VALU_DEP_4)
	v_mul_lo_u16 v35, 0x75, v35
	v_mul_lo_u16 v30, 0x75, v30
	s_delay_alu instid0(VALU_DEP_4) | instskip(NEXT) | instid1(VALU_DEP_4)
	v_mul_lo_u16 v34, 0x75, v34
	v_mul_lo_u16 v33, 0x75, v33
	s_delay_alu instid0(VALU_DEP_4) | instskip(NEXT) | instid1(VALU_DEP_4)
	v_lshrrev_b16 v35, 8, v35
	v_lshrrev_b16 v30, 8, v30
	s_delay_alu instid0(VALU_DEP_4) | instskip(NEXT) | instid1(VALU_DEP_4)
	v_lshrrev_b16 v34, 8, v34
	v_lshrrev_b16 v33, 8, v33
	s_delay_alu instid0(VALU_DEP_4) | instskip(NEXT) | instid1(VALU_DEP_4)
	v_sub_nc_u16 v39, v15, v35
	v_sub_nc_u16 v36, v12, v30
	s_delay_alu instid0(VALU_DEP_4) | instskip(NEXT) | instid1(VALU_DEP_4)
	v_sub_nc_u16 v38, v16, v34
	v_sub_nc_u16 v37, v17, v33
	s_delay_alu instid0(VALU_DEP_4) | instskip(NEXT) | instid1(VALU_DEP_4)
	v_lshrrev_b16 v39, 1, v39
	v_lshrrev_b16 v36, 1, v36
	s_delay_alu instid0(VALU_DEP_4) | instskip(NEXT) | instid1(VALU_DEP_4)
	v_lshrrev_b16 v38, 1, v38
	v_lshrrev_b16 v37, 1, v37
	s_delay_alu instid0(VALU_DEP_4) | instskip(NEXT) | instid1(VALU_DEP_4)
	v_and_b32_e32 v39, 0x7f, v39
	v_and_b32_e32 v36, 0x7f, v36
	s_delay_alu instid0(VALU_DEP_4) | instskip(NEXT) | instid1(VALU_DEP_4)
	v_and_b32_e32 v38, 0x7f, v38
	v_and_b32_e32 v37, 0x7f, v37
	s_delay_alu instid0(VALU_DEP_4) | instskip(NEXT) | instid1(VALU_DEP_4)
	v_add_nc_u16 v35, v39, v35
	v_add_nc_u16 v30, v36, v30
	s_delay_alu instid0(VALU_DEP_4) | instskip(NEXT) | instid1(VALU_DEP_4)
	v_add_nc_u16 v34, v38, v34
	v_add_nc_u16 v33, v37, v33
	s_delay_alu instid0(VALU_DEP_4) | instskip(NEXT) | instid1(VALU_DEP_4)
	v_lshrrev_b16 v38, 3, v35
	v_lshrrev_b16 v30, 3, v30
	s_delay_alu instid0(VALU_DEP_4)
	v_lshrrev_b16 v37, 3, v34
	v_mov_b32_e32 v34, 0
	v_lshrrev_b16 v36, 3, v33
	v_mul_lo_u16 v41, v38, 11
	v_add_nc_u32_e32 v33, -11, v8
	v_mul_lo_u16 v35, v30, 11
	v_mul_lo_u16 v40, v37, 11
	;; [unrolled: 1-line block ×3, first 2 shown]
	v_sub_nc_u16 v41, v15, v41
	v_cndmask_b32_e64 v33, v33, v8, s0
	v_sub_nc_u16 v35, v12, v35
	v_sub_nc_u16 v40, v16, v40
	;; [unrolled: 1-line block ×3, first 2 shown]
	v_and_b32_e32 v41, 0xff, v41
	v_and_b32_e32 v30, 0xffff, v30
	v_and_b32_e32 v42, 0xff, v35
	v_and_b32_e32 v40, 0xff, v40
	v_lshlrev_b64_e32 v[34:35], 2, v[33:34]
	v_and_b32_e32 v39, 0xff, v39
	v_lshlrev_b32_e32 v41, 2, v41
	v_lshlrev_b32_e32 v42, 2, v42
	;; [unrolled: 1-line block ×3, first 2 shown]
	v_and_b32_e32 v36, 0xffff, v36
	v_lshlrev_b32_e32 v39, 2, v39
	v_add_co_u32 v34, s1, s4, v34
	s_wait_alu 0xf1ff
	v_add_co_ci_u32_e64 v35, s1, s5, v35, s1
	s_clause 0x4
	global_load_b32 v43, v41, s[4:5]
	global_load_b32 v44, v40, s[4:5]
	;; [unrolled: 1-line block ×4, first 2 shown]
	global_load_b32 v34, v[34:35], off
	v_cmp_lt_u32_e64 s1, 10, v8
	v_and_b32_e32 v37, 0xffff, v37
	v_and_b32_e32 v38, 0xffff, v38
	v_mad_u32_u24 v30, 0x58, v30, 0
	v_lshlrev_b32_e32 v33, 2, v33
	s_wait_alu 0xf1ff
	v_cndmask_b32_e64 v35, 0, 0x58, s1
	v_mad_u32_u24 v36, 0x58, v36, 0
	v_mad_u32_u24 v37, 0x58, v37, 0
	;; [unrolled: 1-line block ×3, first 2 shown]
	v_add3_u32 v30, v30, v42, v31
	v_add_nc_u32_e32 v35, 0, v35
	global_wb scope:SCOPE_SE
	s_wait_loadcnt_dscnt 0x0
	s_barrier_signal -1
	s_barrier_wait -1
	global_inv scope:SCOPE_SE
	v_add3_u32 v33, v35, v33, v31
	v_add3_u32 v35, v36, v39, v31
	;; [unrolled: 1-line block ×4, first 2 shown]
	v_pk_mul_f16 v38, v43, v23 op_sel:[0,1]
	v_pk_mul_f16 v39, v44, v3 op_sel:[0,1]
	;; [unrolled: 1-line block ×5, first 2 shown]
	v_pk_fma_f16 v47, v43, v23, v38 op_sel:[0,0,1] op_sel_hi:[1,1,0]
	v_pk_fma_f16 v48, v44, v3, v39 op_sel:[0,0,1] op_sel_hi:[1,1,0]
	;; [unrolled: 1-line block ×5, first 2 shown]
	v_pk_fma_f16 v0, v34, v0, v42 op_sel:[0,0,1] op_sel_hi:[1,0,0] neg_lo:[1,0,0] neg_hi:[1,0,0]
	v_pk_fma_f16 v1, v46, v1, v41 op_sel:[0,0,1] op_sel_hi:[1,0,0] neg_lo:[1,0,0] neg_hi:[1,0,0]
	;; [unrolled: 1-line block ×5, first 2 shown]
	v_bfi_b32 v0, 0xffff, v51, v0
	v_bfi_b32 v1, 0xffff, v50, v1
	;; [unrolled: 1-line block ×5, first 2 shown]
	v_pk_add_f16 v0, v18, v0 neg_lo:[0,1] neg_hi:[0,1]
	v_pk_add_f16 v1, v22, v1 neg_lo:[0,1] neg_hi:[0,1]
	;; [unrolled: 1-line block ×5, first 2 shown]
	v_pk_fma_f16 v18, v18, 2.0, v0 op_sel_hi:[1,0,1] neg_lo:[0,0,1] neg_hi:[0,0,1]
	v_pk_fma_f16 v22, v22, 2.0, v1 op_sel_hi:[1,0,1] neg_lo:[0,0,1] neg_hi:[0,0,1]
	;; [unrolled: 1-line block ×5, first 2 shown]
	ds_store_2addr_b32 v33, v18, v0 offset1:11
	ds_store_2addr_b32 v30, v22, v1 offset1:11
	;; [unrolled: 1-line block ×5, first 2 shown]
	s_and_saveexec_b32 s1, s0
	s_cbranch_execz .LBB0_16
; %bb.15:
	v_and_b32_e32 v0, 0xff, v14
	s_delay_alu instid0(VALU_DEP_1) | instskip(NEXT) | instid1(VALU_DEP_1)
	v_mul_lo_u16 v0, 0x75, v0
	v_lshrrev_b16 v0, 8, v0
	s_delay_alu instid0(VALU_DEP_1) | instskip(NEXT) | instid1(VALU_DEP_1)
	v_sub_nc_u16 v1, v14, v0
	v_lshrrev_b16 v1, 1, v1
	s_delay_alu instid0(VALU_DEP_1) | instskip(NEXT) | instid1(VALU_DEP_1)
	v_and_b32_e32 v1, 0x7f, v1
	v_add_nc_u16 v0, v1, v0
	s_delay_alu instid0(VALU_DEP_1) | instskip(NEXT) | instid1(VALU_DEP_1)
	v_lshrrev_b16 v0, 3, v0
	v_mul_lo_u16 v0, v0, 11
	s_delay_alu instid0(VALU_DEP_1) | instskip(NEXT) | instid1(VALU_DEP_1)
	v_sub_nc_u16 v0, v14, v0
	v_and_b32_e32 v0, 0xff, v0
	s_delay_alu instid0(VALU_DEP_1) | instskip(SKIP_4) | instid1(VALU_DEP_1)
	v_lshlrev_b32_e32 v0, 2, v0
	global_load_b32 v1, v0, s[4:5]
	v_add3_u32 v0, 0, v0, v31
	s_wait_loadcnt 0x0
	v_lshrrev_b32_e32 v2, 16, v1
	v_mul_f16_e32 v3, v7, v2
	v_mul_f16_e32 v2, v6, v2
	s_delay_alu instid0(VALU_DEP_2) | instskip(NEXT) | instid1(VALU_DEP_2)
	v_fmac_f16_e32 v3, v6, v1
	v_fma_f16 v1, v7, v1, -v2
	s_delay_alu instid0(VALU_DEP_2) | instskip(NEXT) | instid1(VALU_DEP_2)
	v_sub_f16_e32 v2, v4, v3
	v_sub_f16_e32 v1, v5, v1
	s_delay_alu instid0(VALU_DEP_2) | instskip(NEXT) | instid1(VALU_DEP_2)
	v_fma_f16 v3, v4, 2.0, -v2
	v_fma_f16 v4, v5, 2.0, -v1
	v_pack_b32_f16 v1, v2, v1
	s_delay_alu instid0(VALU_DEP_2)
	v_pack_b32_f16 v3, v3, v4
	ds_store_2addr_b32 v0, v3, v1 offset0:220 offset1:231
.LBB0_16:
	s_wait_alu 0xfffe
	s_or_b32 exec_lo, exec_lo, s1
	v_mul_u32_u24_e32 v0, 10, v8
	global_wb scope:SCOPE_SE
	s_wait_dscnt 0x0
	s_barrier_signal -1
	s_barrier_wait -1
	global_inv scope:SCOPE_SE
	v_lshlrev_b32_e32 v18, 2, v0
	v_add3_u32 v31, 0, v32, v31
	s_mov_b32 s2, exec_lo
	s_clause 0x2
	global_load_b128 v[0:3], v18, s[4:5] offset:44
	global_load_b128 v[4:7], v18, s[4:5] offset:60
	global_load_b64 v[18:19], v18, s[4:5] offset:76
	ds_load_2addr_b32 v[22:23], v9 offset0:132 offset1:154
	ds_load_2addr_b32 v[20:21], v9 offset0:176 offset1:198
	ds_load_b32 v30, v24
	ds_load_b32 v37, v29
	;; [unrolled: 1-line block ×6, first 2 shown]
	ds_load_u16 v33, v31 offset:2
	ds_load_b32 v31, v9 offset:880
	global_wb scope:SCOPE_SE
	s_wait_loadcnt_dscnt 0x0
	s_barrier_signal -1
	s_barrier_wait -1
	global_inv scope:SCOPE_SE
	v_lshrrev_b32_e32 v42, 16, v37
	v_lshrrev_b32_e32 v43, 16, v36
	;; [unrolled: 1-line block ×15, first 2 shown]
	v_mul_f16_e32 v58, v48, v42
	v_mul_f16_e32 v48, v48, v37
	v_lshrrev_b32_e32 v50, 16, v2
	v_lshrrev_b32_e32 v52, 16, v4
	v_mul_f16_e32 v59, v49, v43
	v_mul_f16_e32 v49, v49, v36
	;; [unrolled: 1-line block ×5, first 2 shown]
	v_fmac_f16_e32 v58, v0, v37
	v_fma_f16 v0, v0, v42, -v48
	v_lshrrev_b32_e32 v51, 16, v3
	v_lshrrev_b32_e32 v53, 16, v5
	;; [unrolled: 1-line block ×3, first 2 shown]
	v_mul_f16_e32 v67, v47, v57
	v_mul_f16_e32 v57, v31, v57
	;; [unrolled: 1-line block ×7, first 2 shown]
	v_fmac_f16_e32 v59, v1, v36
	v_fma_f16 v1, v1, v43, -v49
	v_fmac_f16_e32 v65, v20, v7
	v_fmac_f16_e32 v66, v21, v18
	v_fma_f16 v18, v41, v18, -v56
	v_add_f16_e32 v20, v58, v30
	v_add_f16_e32 v21, v0, v46
	v_mul_f16_e32 v61, v51, v45
	v_mul_f16_e32 v51, v51, v34
	;; [unrolled: 1-line block ×6, first 2 shown]
	v_fmac_f16_e32 v67, v31, v19
	v_fma_f16 v19, v47, v19, -v57
	v_fmac_f16_e32 v60, v2, v35
	v_fma_f16 v2, v2, v44, -v50
	;; [unrolled: 2-line block ×3, first 2 shown]
	v_add_f16_e32 v33, v1, v18
	v_sub_f16_e32 v35, v1, v18
	v_add_f16_e32 v20, v20, v59
	v_add_f16_e32 v1, v21, v1
	v_fmac_f16_e32 v61, v3, v34
	v_fma_f16 v3, v3, v45, -v51
	v_fmac_f16_e32 v63, v22, v5
	v_fma_f16 v5, v38, v5, -v53
	;; [unrolled: 2-line block ×3, first 2 shown]
	v_fma_f16 v7, v40, v7, -v55
	v_add_f16_e32 v23, v0, v19
	v_sub_f16_e32 v0, v0, v19
	v_add_f16_e32 v20, v20, v60
	v_add_f16_e32 v1, v1, v2
	;; [unrolled: 1-line block ×3, first 2 shown]
	v_sub_f16_e32 v31, v58, v67
	v_add_f16_e32 v37, v2, v7
	v_sub_f16_e32 v39, v2, v7
	v_sub_f16_e32 v40, v3, v6
	v_add_f16_e32 v42, v3, v6
	v_sub_f16_e32 v44, v4, v5
	v_add_f16_e32 v47, v4, v5
	v_mul_f16_e32 v21, 0xb853, v0
	v_mul_f16_e32 v49, 0x3abb, v23
	;; [unrolled: 1-line block ×10, first 2 shown]
	v_add_f16_e32 v20, v20, v61
	v_add_f16_e32 v1, v1, v3
	;; [unrolled: 1-line block ×3, first 2 shown]
	v_sub_f16_e32 v34, v59, v66
	v_add_f16_e32 v36, v60, v65
	v_sub_f16_e32 v38, v60, v65
	v_add_f16_e32 v41, v61, v64
	;; [unrolled: 2-line block ×3, first 2 shown]
	v_sub_f16_e32 v48, v62, v63
	v_mul_f16_e32 v56, 0xbb47, v35
	v_mul_f16_e32 v57, 0x36a6, v33
	;; [unrolled: 1-line block ×40, first 2 shown]
	v_fmamk_f16 v2, v22, 0x3abb, v21
	v_fmamk_f16 v60, v31, 0x3853, v49
	v_fma_f16 v21, v22, 0x3abb, -v21
	v_fmac_f16_e32 v49, 0xb853, v31
	v_fmamk_f16 v96, v22, 0x36a6, v50
	v_fmamk_f16 v97, v31, 0x3b47, v51
	v_fma_f16 v50, v22, 0x36a6, -v50
	v_fmac_f16_e32 v51, 0xbb47, v31
	;; [unrolled: 4-line block ×5, first 2 shown]
	v_add_f16_e32 v20, v20, v62
	v_add_f16_e32 v1, v1, v4
	v_fmamk_f16 v22, v32, 0x36a6, v56
	v_fmamk_f16 v31, v34, 0x3b47, v57
	v_fma_f16 v56, v32, 0x36a6, -v56
	v_fmac_f16_e32 v57, 0xbb47, v34
	v_fmamk_f16 v104, v32, 0xb93d, v58
	v_fmamk_f16 v105, v34, 0x3a0c, v59
	v_fma_f16 v58, v32, 0xb93d, -v58
	v_fmac_f16_e32 v59, 0xba0c, v34
	;; [unrolled: 4-line block ×9, first 2 shown]
	v_fmamk_f16 v118, v36, 0xb93d, v39
	v_fma_f16 v36, v36, 0xb93d, -v39
	v_fmamk_f16 v39, v38, 0x3a0c, v37
	v_fmac_f16_e32 v37, 0xba0c, v38
	v_fmamk_f16 v38, v41, 0xb93d, v80
	v_fma_f16 v80, v41, 0xb93d, -v80
	v_fmamk_f16 v119, v41, 0xb08e, v81
	v_fma_f16 v81, v41, 0xb08e, -v81
	;; [unrolled: 2-line block ×5, first 2 shown]
	v_fmamk_f16 v41, v43, 0x3a0c, v84
	v_fmac_f16_e32 v84, 0xba0c, v43
	v_fmamk_f16 v123, v43, 0xbbeb, v85
	v_fmac_f16_e32 v85, 0x3beb, v43
	;; [unrolled: 2-line block ×5, first 2 shown]
	v_fmamk_f16 v43, v45, 0xbbad, v88
	v_fma_f16 v88, v45, 0xbbad, -v88
	v_fmamk_f16 v127, v45, 0x3abb, v89
	v_fma_f16 v89, v45, 0x3abb, -v89
	v_fma_f16 v128, 0xb93d, v45, v90
	v_fma_f16 v90, v45, 0xb93d, -v90
	v_fma_f16 v129, 0x36a6, v45, v91
	v_fma_f16 v91, v45, 0x36a6, -v91
	v_fma_f16 v130, 0xb08e, v45, v44
	v_fma_f16 v44, v45, 0xb08e, -v44
	v_fmamk_f16 v45, v48, 0x3482, v92
	v_fmac_f16_e32 v92, 0xb482, v48
	v_fma_f16 v131, 0xb853, v48, v93
	v_fmac_f16_e32 v93, 0x3853, v48
	v_fma_f16 v132, 0x3a0c, v48, v94
	v_fmac_f16_e32 v94, 0xba0c, v48
	v_fma_f16 v133, 0xbb47, v48, v95
	v_fmac_f16_e32 v95, 0x3b47, v48
	v_fma_f16 v134, 0x3beb, v48, v47
	v_fmac_f16_e32 v47, 0xbbeb, v48
	v_add_f16_e32 v2, v2, v30
	v_add_f16_e32 v3, v21, v30
	;; [unrolled: 1-line block ×91, first 2 shown]
	v_add_f16_e64 v7, v131, v21
	v_add_f16_e32 v21, v89, v22
	v_add_f16_e32 v22, v93, v30
	v_add_f16_e64 v30, v128, v31
	v_add_f16_e64 v31, v132, v32
	v_add_f16_e32 v32, v90, v33
	v_add_f16_e32 v33, v94, v34
	v_add_f16_e64 v34, v129, v35
	;; [unrolled: 4-line block ×3, first 2 shown]
	v_add_f16_e64 v39, v134, v39
	v_add_f16_e32 v0, v44, v0
	v_add_f16_e32 v23, v47, v23
	;; [unrolled: 1-line block ×6, first 2 shown]
	v_pack_b32_f16 v2, v2, v4
	v_pack_b32_f16 v4, v6, v7
	v_pack_b32_f16 v6, v30, v31
	v_pack_b32_f16 v7, v34, v35
	v_pack_b32_f16 v18, v38, v39
	v_pack_b32_f16 v0, v0, v23
	v_pack_b32_f16 v23, v36, v37
	v_pack_b32_f16 v19, v32, v33
	v_pack_b32_f16 v21, v21, v22
	v_pack_b32_f16 v3, v3, v5
	v_pack_b32_f16 v1, v20, v1
	ds_store_2addr_b32 v9, v4, v6 offset0:44 offset1:66
	ds_store_2addr_b32 v9, v7, v18 offset0:88 offset1:110
	;; [unrolled: 1-line block ×4, first 2 shown]
	ds_store_b32 v9, v3 offset:880
	ds_store_2addr_b32 v9, v1, v2 offset1:22
	global_wb scope:SCOPE_SE
	s_wait_dscnt 0x0
	s_barrier_signal -1
	s_barrier_wait -1
	global_inv scope:SCOPE_SE
	ds_load_b32 v4, v24
	v_sub_nc_u32_e32 v0, v25, v13
                                        ; implicit-def: $vgpr3
                                        ; implicit-def: $vgpr1
                                        ; implicit-def: $vgpr2
	s_wait_dscnt 0x0
	v_lshrrev_b32_e32 v5, 16, v4
	v_cmpx_ne_u32_e32 0, v8
	s_wait_alu 0xfffe
	s_xor_b32 s2, exec_lo, s2
	s_cbranch_execz .LBB0_18
; %bb.17:
	v_mov_b32_e32 v9, 0
	s_delay_alu instid0(VALU_DEP_1) | instskip(NEXT) | instid1(VALU_DEP_1)
	v_lshlrev_b64_e32 v[1:2], 2, v[8:9]
	v_add_co_u32 v1, s1, s4, v1
	s_wait_alu 0xf1ff
	s_delay_alu instid0(VALU_DEP_2)
	v_add_co_ci_u32_e64 v2, s1, s5, v2, s1
	global_load_b32 v3, v[1:2], off offset:924
	ds_load_b32 v1, v0 offset:968
	s_wait_dscnt 0x0
	v_lshrrev_b32_e32 v2, 16, v1
	v_sub_f16_e32 v6, v4, v1
	v_add_f16_e32 v1, v1, v4
	s_delay_alu instid0(VALU_DEP_3) | instskip(SKIP_1) | instid1(VALU_DEP_4)
	v_add_f16_e32 v7, v2, v5
	v_sub_f16_e32 v2, v5, v2
	v_mul_f16_e32 v5, 0.5, v6
	s_delay_alu instid0(VALU_DEP_3) | instskip(NEXT) | instid1(VALU_DEP_3)
	v_mul_f16_e32 v4, 0.5, v7
	v_mul_f16_e32 v2, 0.5, v2
	s_wait_loadcnt 0x0
	v_lshrrev_b32_e32 v6, 16, v3
	s_delay_alu instid0(VALU_DEP_1) | instskip(NEXT) | instid1(VALU_DEP_3)
	v_mul_f16_e32 v7, v6, v5
	v_fma_f16 v9, v4, v6, v2
	v_fma_f16 v6, v4, v6, -v2
	s_delay_alu instid0(VALU_DEP_3) | instskip(SKIP_1) | instid1(VALU_DEP_4)
	v_fma_f16 v13, 0.5, v1, v7
	v_fma_f16 v1, v1, 0.5, -v7
	v_fma_f16 v2, -v3, v5, v9
	s_delay_alu instid0(VALU_DEP_3) | instskip(NEXT) | instid1(VALU_DEP_3)
	v_fmac_f16_e32 v13, v3, v4
	v_fma_f16 v1, -v3, v4, v1
	v_fma_f16 v3, -v3, v5, v6
                                        ; implicit-def: $vgpr5
                                        ; implicit-def: $vgpr4
	ds_store_b16 v24, v13
.LBB0_18:
	s_wait_alu 0xfffe
	s_and_not1_saveexec_b32 s1, s2
	s_cbranch_execz .LBB0_20
; %bb.19:
	ds_load_u16 v2, v25 offset:486
	v_add_f16_e32 v6, v5, v4
	v_sub_f16_e32 v1, v4, v5
	v_mov_b32_e32 v3, 0
	s_wait_dscnt 0x0
	v_xor_b32_e32 v4, 0x8000, v2
	v_mov_b32_e32 v2, 0
	ds_store_b16 v24, v6
	ds_store_b16 v25, v4 offset:486
.LBB0_20:
	s_wait_alu 0xfffe
	s_or_b32 exec_lo, exec_lo, s1
	v_mov_b32_e32 v13, 0
	v_perm_b32 v1, v3, v1, 0x5040100
	s_delay_alu instid0(VALU_DEP_2) | instskip(SKIP_1) | instid1(VALU_DEP_2)
	v_lshlrev_b64_e32 v[4:5], 2, v[12:13]
	v_mov_b32_e32 v18, v13
	v_add_co_u32 v4, s1, s4, v4
	s_wait_alu 0xf1ff
	s_delay_alu instid0(VALU_DEP_3) | instskip(SKIP_3) | instid1(VALU_DEP_2)
	v_add_co_ci_u32_e64 v5, s1, s5, v5, s1
	global_load_b32 v6, v[4:5], off offset:924
	v_lshlrev_b64_e32 v[4:5], 2, v[17:18]
	v_mov_b32_e32 v17, v13
	v_add_co_u32 v4, s1, s4, v4
	s_wait_alu 0xf1ff
	s_delay_alu instid0(VALU_DEP_3) | instskip(SKIP_3) | instid1(VALU_DEP_2)
	v_add_co_ci_u32_e64 v5, s1, s5, v5, s1
	global_load_b32 v7, v[4:5], off offset:924
	v_lshlrev_b64_e32 v[4:5], 2, v[16:17]
	v_mov_b32_e32 v16, v13
	v_add_co_u32 v4, s1, s4, v4
	s_wait_alu 0xf1ff
	s_delay_alu instid0(VALU_DEP_3) | instskip(SKIP_2) | instid1(VALU_DEP_1)
	v_add_co_ci_u32_e64 v5, s1, s5, v5, s1
	global_load_b32 v9, v[4:5], off offset:924
	v_lshlrev_b64_e32 v[4:5], 2, v[15:16]
	v_add_co_u32 v4, s1, s4, v4
	s_wait_alu 0xf1ff
	s_delay_alu instid0(VALU_DEP_2)
	v_add_co_ci_u32_e64 v5, s1, s5, v5, s1
	global_load_b32 v4, v[4:5], off offset:924
	ds_store_b16 v24, v2 offset:2
	ds_store_b32 v0, v1 offset:968
	ds_load_b32 v1, v29
	ds_load_b32 v2, v0 offset:880
	s_wait_dscnt 0x0
	v_pk_add_f16 v3, v1, v2 neg_lo:[0,1] neg_hi:[0,1]
	v_pk_add_f16 v1, v1, v2
	s_delay_alu instid0(VALU_DEP_1) | instskip(SKIP_1) | instid1(VALU_DEP_2)
	v_bfi_b32 v2, 0xffff, v3, v1
	v_bfi_b32 v1, 0xffff, v1, v3
	v_pk_mul_f16 v2, v2, 0.5 op_sel_hi:[1,0]
	s_delay_alu instid0(VALU_DEP_2) | instskip(SKIP_1) | instid1(VALU_DEP_1)
	v_pk_mul_f16 v1, v1, 0.5 op_sel_hi:[1,0]
	s_wait_loadcnt 0x3
	v_pk_fma_f16 v3, v6, v2, v1 op_sel:[1,0,0]
	v_pk_mul_f16 v5, v6, v2 op_sel_hi:[0,1]
	v_pk_fma_f16 v12, v6, v2, v1 op_sel:[1,0,0] neg_lo:[1,0,0] neg_hi:[1,0,0]
	v_pk_fma_f16 v1, v6, v2, v1 op_sel:[1,0,0] neg_lo:[0,0,1] neg_hi:[0,0,1]
	s_delay_alu instid0(VALU_DEP_3) | instskip(SKIP_1) | instid1(VALU_DEP_4)
	v_pk_add_f16 v2, v3, v5 op_sel:[0,1] op_sel_hi:[1,0]
	v_pk_add_f16 v3, v3, v5 op_sel:[0,1] op_sel_hi:[1,0] neg_lo:[0,1] neg_hi:[0,1]
	v_pk_add_f16 v6, v12, v5 op_sel:[0,1] op_sel_hi:[1,0] neg_lo:[0,1] neg_hi:[0,1]
	s_delay_alu instid0(VALU_DEP_4) | instskip(NEXT) | instid1(VALU_DEP_3)
	v_pk_add_f16 v1, v1, v5 op_sel:[0,1] op_sel_hi:[1,0] neg_lo:[0,1] neg_hi:[0,1]
	v_bfi_b32 v2, 0xffff, v2, v3
	s_delay_alu instid0(VALU_DEP_2)
	v_bfi_b32 v1, 0xffff, v6, v1
	ds_store_b32 v29, v2
	ds_store_b32 v0, v1 offset:880
	ds_load_b32 v1, v28
	ds_load_b32 v2, v0 offset:792
	s_wait_dscnt 0x0
	v_pk_add_f16 v3, v1, v2 neg_lo:[0,1] neg_hi:[0,1]
	v_pk_add_f16 v1, v1, v2
	s_delay_alu instid0(VALU_DEP_1) | instskip(SKIP_1) | instid1(VALU_DEP_2)
	v_bfi_b32 v2, 0xffff, v3, v1
	v_bfi_b32 v1, 0xffff, v1, v3
	v_pk_mul_f16 v2, v2, 0.5 op_sel_hi:[1,0]
	s_delay_alu instid0(VALU_DEP_2) | instskip(SKIP_1) | instid1(VALU_DEP_2)
	v_pk_mul_f16 v1, v1, 0.5 op_sel_hi:[1,0]
	s_wait_loadcnt 0x2
	v_pk_mul_f16 v5, v7, v2 op_sel_hi:[0,1]
	s_delay_alu instid0(VALU_DEP_2) | instskip(SKIP_2) | instid1(VALU_DEP_3)
	v_pk_fma_f16 v3, v7, v2, v1 op_sel:[1,0,0]
	v_pk_fma_f16 v6, v7, v2, v1 op_sel:[1,0,0] neg_lo:[1,0,0] neg_hi:[1,0,0]
	v_pk_fma_f16 v1, v7, v2, v1 op_sel:[1,0,0] neg_lo:[0,0,1] neg_hi:[0,0,1]
	v_pk_add_f16 v2, v3, v5 op_sel:[0,1] op_sel_hi:[1,0]
	v_pk_add_f16 v3, v3, v5 op_sel:[0,1] op_sel_hi:[1,0] neg_lo:[0,1] neg_hi:[0,1]
	s_delay_alu instid0(VALU_DEP_4) | instskip(NEXT) | instid1(VALU_DEP_4)
	v_pk_add_f16 v6, v6, v5 op_sel:[0,1] op_sel_hi:[1,0] neg_lo:[0,1] neg_hi:[0,1]
	v_pk_add_f16 v1, v1, v5 op_sel:[0,1] op_sel_hi:[1,0] neg_lo:[0,1] neg_hi:[0,1]
	s_delay_alu instid0(VALU_DEP_3) | instskip(NEXT) | instid1(VALU_DEP_2)
	v_bfi_b32 v2, 0xffff, v2, v3
	v_bfi_b32 v1, 0xffff, v6, v1
	ds_store_b32 v28, v2
	ds_store_b32 v0, v1 offset:792
	ds_load_b32 v1, v27
	ds_load_b32 v2, v0 offset:704
	s_wait_dscnt 0x0
	v_pk_add_f16 v3, v1, v2 neg_lo:[0,1] neg_hi:[0,1]
	v_pk_add_f16 v1, v1, v2
	s_delay_alu instid0(VALU_DEP_1) | instskip(SKIP_1) | instid1(VALU_DEP_2)
	v_bfi_b32 v2, 0xffff, v3, v1
	v_bfi_b32 v1, 0xffff, v1, v3
	v_pk_mul_f16 v2, v2, 0.5 op_sel_hi:[1,0]
	s_delay_alu instid0(VALU_DEP_2) | instskip(SKIP_1) | instid1(VALU_DEP_2)
	v_pk_mul_f16 v1, v1, 0.5 op_sel_hi:[1,0]
	s_wait_loadcnt 0x1
	v_pk_mul_f16 v5, v9, v2 op_sel_hi:[0,1]
	s_delay_alu instid0(VALU_DEP_2) | instskip(SKIP_2) | instid1(VALU_DEP_3)
	v_pk_fma_f16 v3, v9, v2, v1 op_sel:[1,0,0]
	v_pk_fma_f16 v6, v9, v2, v1 op_sel:[1,0,0] neg_lo:[1,0,0] neg_hi:[1,0,0]
	v_pk_fma_f16 v1, v9, v2, v1 op_sel:[1,0,0] neg_lo:[0,0,1] neg_hi:[0,0,1]
	v_pk_add_f16 v2, v3, v5 op_sel:[0,1] op_sel_hi:[1,0]
	v_pk_add_f16 v3, v3, v5 op_sel:[0,1] op_sel_hi:[1,0] neg_lo:[0,1] neg_hi:[0,1]
	s_delay_alu instid0(VALU_DEP_4) | instskip(NEXT) | instid1(VALU_DEP_4)
	v_pk_add_f16 v6, v6, v5 op_sel:[0,1] op_sel_hi:[1,0] neg_lo:[0,1] neg_hi:[0,1]
	v_pk_add_f16 v1, v1, v5 op_sel:[0,1] op_sel_hi:[1,0] neg_lo:[0,1] neg_hi:[0,1]
	s_delay_alu instid0(VALU_DEP_3) | instskip(NEXT) | instid1(VALU_DEP_2)
	v_bfi_b32 v2, 0xffff, v2, v3
	;; [unrolled: 27-line block ×3, first 2 shown]
	v_bfi_b32 v1, 0xffff, v4, v1
	ds_store_b32 v26, v2
	ds_store_b32 v0, v1 offset:616
	s_and_saveexec_b32 s1, s0
	s_cbranch_execz .LBB0_22
; %bb.21:
	v_mov_b32_e32 v15, v13
	s_delay_alu instid0(VALU_DEP_1) | instskip(NEXT) | instid1(VALU_DEP_1)
	v_lshlrev_b64_e32 v[1:2], 2, v[14:15]
	v_add_co_u32 v1, s0, s4, v1
	s_wait_alu 0xf1ff
	s_delay_alu instid0(VALU_DEP_2)
	v_add_co_ci_u32_e64 v2, s0, s5, v2, s0
	global_load_b32 v1, v[1:2], off offset:924
	v_lshl_add_u32 v2, v14, 2, v25
	ds_load_b32 v3, v2
	ds_load_b32 v4, v0 offset:528
	s_wait_dscnt 0x0
	v_pk_add_f16 v5, v3, v4 neg_lo:[0,1] neg_hi:[0,1]
	v_pk_add_f16 v3, v3, v4
	s_delay_alu instid0(VALU_DEP_1) | instskip(SKIP_1) | instid1(VALU_DEP_2)
	v_bfi_b32 v4, 0xffff, v5, v3
	v_bfi_b32 v3, 0xffff, v3, v5
	v_pk_mul_f16 v4, v4, 0.5 op_sel_hi:[1,0]
	s_delay_alu instid0(VALU_DEP_2) | instskip(SKIP_1) | instid1(VALU_DEP_1)
	v_pk_mul_f16 v3, v3, 0.5 op_sel_hi:[1,0]
	s_wait_loadcnt 0x0
	v_pk_fma_f16 v5, v1, v4, v3 op_sel:[1,0,0]
	v_pk_mul_f16 v6, v1, v4 op_sel_hi:[0,1]
	v_pk_fma_f16 v7, v1, v4, v3 op_sel:[1,0,0] neg_lo:[1,0,0] neg_hi:[1,0,0]
	v_pk_fma_f16 v1, v1, v4, v3 op_sel:[1,0,0] neg_lo:[0,0,1] neg_hi:[0,0,1]
	s_delay_alu instid0(VALU_DEP_3) | instskip(SKIP_1) | instid1(VALU_DEP_4)
	v_pk_add_f16 v3, v5, v6 op_sel:[0,1] op_sel_hi:[1,0]
	v_pk_add_f16 v4, v5, v6 op_sel:[0,1] op_sel_hi:[1,0] neg_lo:[0,1] neg_hi:[0,1]
	v_pk_add_f16 v5, v7, v6 op_sel:[0,1] op_sel_hi:[1,0] neg_lo:[0,1] neg_hi:[0,1]
	s_delay_alu instid0(VALU_DEP_4) | instskip(NEXT) | instid1(VALU_DEP_3)
	v_pk_add_f16 v1, v1, v6 op_sel:[0,1] op_sel_hi:[1,0] neg_lo:[0,1] neg_hi:[0,1]
	v_bfi_b32 v3, 0xffff, v3, v4
	s_delay_alu instid0(VALU_DEP_2)
	v_bfi_b32 v1, 0xffff, v5, v1
	ds_store_b32 v2, v3
	ds_store_b32 v0, v1 offset:528
.LBB0_22:
	s_wait_alu 0xfffe
	s_or_b32 exec_lo, exec_lo, s1
	global_wb scope:SCOPE_SE
	s_wait_dscnt 0x0
	s_barrier_signal -1
	s_barrier_wait -1
	global_inv scope:SCOPE_SE
	s_and_saveexec_b32 s0, vcc_lo
	s_cbranch_execz .LBB0_25
; %bb.23:
	ds_load_2addr_b32 v[2:3], v24 offset1:22
	ds_load_2addr_b32 v[4:5], v24 offset0:44 offset1:66
	ds_load_2addr_b32 v[6:7], v24 offset0:88 offset1:110
	;; [unrolled: 1-line block ×4, first 2 shown]
	ds_load_b32 v18, v24 offset:880
	v_mov_b32_e32 v9, 0
	v_add_co_u32 v0, vcc_lo, s8, v10
	s_wait_alu 0xfffd
	v_add_co_ci_u32_e32 v1, vcc_lo, s9, v11, vcc_lo
	s_delay_alu instid0(VALU_DEP_3) | instskip(NEXT) | instid1(VALU_DEP_1)
	v_lshlrev_b64_e32 v[14:15], 2, v[8:9]
	v_add_co_u32 v9, vcc_lo, v0, v14
	s_wait_alu 0xfffd
	s_delay_alu instid0(VALU_DEP_2)
	v_add_co_ci_u32_e32 v10, vcc_lo, v1, v15, vcc_lo
	v_cmp_eq_u32_e32 vcc_lo, 21, v8
	s_wait_dscnt 0x5
	s_clause 0x1
	global_store_b32 v[9:10], v2, off
	global_store_b32 v[9:10], v3, off offset:88
	s_wait_dscnt 0x4
	s_clause 0x1
	global_store_b32 v[9:10], v4, off offset:176
	global_store_b32 v[9:10], v5, off offset:264
	s_wait_dscnt 0x3
	s_clause 0x1
	global_store_b32 v[9:10], v6, off offset:352
	global_store_b32 v[9:10], v7, off offset:440
	s_wait_dscnt 0x2
	s_clause 0x1
	global_store_b32 v[9:10], v12, off offset:528
	global_store_b32 v[9:10], v13, off offset:616
	s_wait_dscnt 0x1
	s_clause 0x1
	global_store_b32 v[9:10], v16, off offset:704
	global_store_b32 v[9:10], v17, off offset:792
	s_wait_dscnt 0x0
	global_store_b32 v[9:10], v18, off offset:880
	s_and_b32 exec_lo, exec_lo, vcc_lo
	s_cbranch_execz .LBB0_25
; %bb.24:
	ds_load_b32 v2, v24 offset:884
	s_wait_dscnt 0x0
	global_store_b32 v[0:1], v2, off offset:968
.LBB0_25:
	s_nop 0
	s_sendmsg sendmsg(MSG_DEALLOC_VGPRS)
	s_endpgm
	.section	.rodata,"a",@progbits
	.p2align	6, 0x0
	.amdhsa_kernel fft_rtc_back_len242_factors_11_2_11_wgs_110_tpt_22_half_ip_CI_unitstride_sbrr_R2C_dirReg
		.amdhsa_group_segment_fixed_size 0
		.amdhsa_private_segment_fixed_size 0
		.amdhsa_kernarg_size 88
		.amdhsa_user_sgpr_count 2
		.amdhsa_user_sgpr_dispatch_ptr 0
		.amdhsa_user_sgpr_queue_ptr 0
		.amdhsa_user_sgpr_kernarg_segment_ptr 1
		.amdhsa_user_sgpr_dispatch_id 0
		.amdhsa_user_sgpr_private_segment_size 0
		.amdhsa_wavefront_size32 1
		.amdhsa_uses_dynamic_stack 0
		.amdhsa_enable_private_segment 0
		.amdhsa_system_sgpr_workgroup_id_x 1
		.amdhsa_system_sgpr_workgroup_id_y 0
		.amdhsa_system_sgpr_workgroup_id_z 0
		.amdhsa_system_sgpr_workgroup_info 0
		.amdhsa_system_vgpr_workitem_id 0
		.amdhsa_next_free_vgpr 135
		.amdhsa_next_free_sgpr 32
		.amdhsa_reserve_vcc 1
		.amdhsa_float_round_mode_32 0
		.amdhsa_float_round_mode_16_64 0
		.amdhsa_float_denorm_mode_32 3
		.amdhsa_float_denorm_mode_16_64 3
		.amdhsa_fp16_overflow 0
		.amdhsa_workgroup_processor_mode 1
		.amdhsa_memory_ordered 1
		.amdhsa_forward_progress 0
		.amdhsa_round_robin_scheduling 0
		.amdhsa_exception_fp_ieee_invalid_op 0
		.amdhsa_exception_fp_denorm_src 0
		.amdhsa_exception_fp_ieee_div_zero 0
		.amdhsa_exception_fp_ieee_overflow 0
		.amdhsa_exception_fp_ieee_underflow 0
		.amdhsa_exception_fp_ieee_inexact 0
		.amdhsa_exception_int_div_zero 0
	.end_amdhsa_kernel
	.text
.Lfunc_end0:
	.size	fft_rtc_back_len242_factors_11_2_11_wgs_110_tpt_22_half_ip_CI_unitstride_sbrr_R2C_dirReg, .Lfunc_end0-fft_rtc_back_len242_factors_11_2_11_wgs_110_tpt_22_half_ip_CI_unitstride_sbrr_R2C_dirReg
                                        ; -- End function
	.section	.AMDGPU.csdata,"",@progbits
; Kernel info:
; codeLenInByte = 9956
; NumSgprs: 34
; NumVgprs: 135
; ScratchSize: 0
; MemoryBound: 0
; FloatMode: 240
; IeeeMode: 1
; LDSByteSize: 0 bytes/workgroup (compile time only)
; SGPRBlocks: 4
; VGPRBlocks: 16
; NumSGPRsForWavesPerEU: 34
; NumVGPRsForWavesPerEU: 135
; Occupancy: 10
; WaveLimiterHint : 1
; COMPUTE_PGM_RSRC2:SCRATCH_EN: 0
; COMPUTE_PGM_RSRC2:USER_SGPR: 2
; COMPUTE_PGM_RSRC2:TRAP_HANDLER: 0
; COMPUTE_PGM_RSRC2:TGID_X_EN: 1
; COMPUTE_PGM_RSRC2:TGID_Y_EN: 0
; COMPUTE_PGM_RSRC2:TGID_Z_EN: 0
; COMPUTE_PGM_RSRC2:TIDIG_COMP_CNT: 0
	.text
	.p2alignl 7, 3214868480
	.fill 96, 4, 3214868480
	.type	__hip_cuid_85e363c86824f85e,@object ; @__hip_cuid_85e363c86824f85e
	.section	.bss,"aw",@nobits
	.globl	__hip_cuid_85e363c86824f85e
__hip_cuid_85e363c86824f85e:
	.byte	0                               ; 0x0
	.size	__hip_cuid_85e363c86824f85e, 1

	.ident	"AMD clang version 19.0.0git (https://github.com/RadeonOpenCompute/llvm-project roc-6.4.0 25133 c7fe45cf4b819c5991fe208aaa96edf142730f1d)"
	.section	".note.GNU-stack","",@progbits
	.addrsig
	.addrsig_sym __hip_cuid_85e363c86824f85e
	.amdgpu_metadata
---
amdhsa.kernels:
  - .args:
      - .actual_access:  read_only
        .address_space:  global
        .offset:         0
        .size:           8
        .value_kind:     global_buffer
      - .offset:         8
        .size:           8
        .value_kind:     by_value
      - .actual_access:  read_only
        .address_space:  global
        .offset:         16
        .size:           8
        .value_kind:     global_buffer
      - .actual_access:  read_only
        .address_space:  global
        .offset:         24
        .size:           8
        .value_kind:     global_buffer
      - .offset:         32
        .size:           8
        .value_kind:     by_value
      - .actual_access:  read_only
        .address_space:  global
        .offset:         40
        .size:           8
        .value_kind:     global_buffer
      - .actual_access:  read_only
        .address_space:  global
        .offset:         48
        .size:           8
        .value_kind:     global_buffer
      - .offset:         56
        .size:           4
        .value_kind:     by_value
      - .actual_access:  read_only
        .address_space:  global
        .offset:         64
        .size:           8
        .value_kind:     global_buffer
      - .actual_access:  read_only
        .address_space:  global
        .offset:         72
        .size:           8
        .value_kind:     global_buffer
      - .address_space:  global
        .offset:         80
        .size:           8
        .value_kind:     global_buffer
    .group_segment_fixed_size: 0
    .kernarg_segment_align: 8
    .kernarg_segment_size: 88
    .language:       OpenCL C
    .language_version:
      - 2
      - 0
    .max_flat_workgroup_size: 110
    .name:           fft_rtc_back_len242_factors_11_2_11_wgs_110_tpt_22_half_ip_CI_unitstride_sbrr_R2C_dirReg
    .private_segment_fixed_size: 0
    .sgpr_count:     34
    .sgpr_spill_count: 0
    .symbol:         fft_rtc_back_len242_factors_11_2_11_wgs_110_tpt_22_half_ip_CI_unitstride_sbrr_R2C_dirReg.kd
    .uniform_work_group_size: 1
    .uses_dynamic_stack: false
    .vgpr_count:     135
    .vgpr_spill_count: 0
    .wavefront_size: 32
    .workgroup_processor_mode: 1
amdhsa.target:   amdgcn-amd-amdhsa--gfx1201
amdhsa.version:
  - 1
  - 2
...

	.end_amdgpu_metadata
